;; amdgpu-corpus repo=zjin-lcf/HeCBench kind=compiled arch=gfx90a opt=O3
	.text
	.amdgcn_target "amdgcn-amd-amdhsa--gfx90a"
	.amdhsa_code_object_version 6
	.protected	_Z12sneaky_snakePKjS0_Piii ; -- Begin function _Z12sneaky_snakePKjS0_Piii
	.globl	_Z12sneaky_snakePKjS0_Piii
	.p2align	8
	.type	_Z12sneaky_snakePKjS0_Piii,@function
_Z12sneaky_snakePKjS0_Piii:             ; @_Z12sneaky_snakePKjS0_Piii
; %bb.0:
	s_load_dword s0, s[4:5], 0x2c
	s_load_dwordx2 s[28:29], s[4:5], 0x18
	s_waitcnt lgkmcnt(0)
	s_and_b32 s0, s0, 0xffff
	s_mul_i32 s6, s6, s0
	v_add_u32_e32 v16, s6, v0
	v_cmp_gt_i32_e32 vcc, s28, v16
	s_and_saveexec_b64 s[0:1], vcc
	s_cbranch_execz .LBB0_64
; %bb.1:
	s_load_dwordx4 s[0:3], s[4:5], 0x0
	s_load_dwordx2 s[6:7], s[4:5], 0x10
	v_lshlrev_b32_e32 v0, 3, v16
	v_ashrrev_i32_e32 v1, 31, v0
	v_lshlrev_b64 v[0:1], 2, v[0:1]
	s_waitcnt lgkmcnt(0)
	v_mov_b32_e32 v2, s1
	v_add_co_u32_e32 v18, vcc, s0, v0
	v_addc_co_u32_e32 v19, vcc, v2, v1, vcc
	v_mov_b32_e32 v2, s3
	v_add_co_u32_e32 v20, vcc, s2, v0
	v_addc_co_u32_e32 v21, vcc, v2, v1, vcc
	global_load_dwordx4 v[0:3], v[18:19], off offset:16
	global_load_dwordx4 v[4:7], v[18:19], off
	global_load_dwordx4 v[8:11], v[20:21], off offset:16
	global_load_dwordx4 v[12:15], v[20:21], off
	v_ashrrev_i32_e32 v17, 31, v16
	v_lshlrev_b64 v[16:17], 2, v[16:17]
	v_mov_b32_e32 v18, s7
	v_add_co_u32_e32 v16, vcc, s6, v16
	s_cmp_gt_i32 s29, 0
	v_addc_co_u32_e32 v17, vcc, v18, v17, vcc
	v_mov_b32_e32 v18, 1
	s_mov_b64 s[30:31], 0
	s_cselect_b64 s[34:35], -1, 0
	v_mov_b32_e32 v22, 0
	s_brev_b32 s28, 1
	s_movk_i32 s33, 0xa9
	s_movk_i32 s40, 0xc7
	v_mov_b32_e32 v23, 0
	v_mov_b32_e32 v24, 0
	;; [unrolled: 1-line block ×3, first 2 shown]
	global_store_dword v[16:17], v18, off
                                        ; implicit-def: $sgpr36_sgpr37
                                        ; implicit-def: $sgpr38_sgpr39
	s_branch .LBB0_4
.LBB0_2:                                ;   in Loop: Header=BB0_4 Depth=1
	s_or_b64 exec, exec, s[6:7]
	s_andn2_b64 s[6:7], s[38:39], exec
	s_and_b64 s[2:3], s[2:3], exec
	s_or_b64 s[38:39], s[6:7], s[2:3]
	s_orn2_b64 s[0:1], s[0:1], exec
.LBB0_3:                                ;   in Loop: Header=BB0_4 Depth=1
	s_or_b64 exec, exec, s[4:5]
	s_and_b64 s[0:1], exec, s[0:1]
	s_or_b64 s[30:31], s[0:1], s[30:31]
	s_andn2_b64 s[0:1], s[36:37], exec
	s_and_b64 s[2:3], s[38:39], exec
	s_or_b64 s[36:37], s[0:1], s[2:3]
	s_andn2_b64 exec, exec, s[30:31]
	s_cbranch_execz .LBB0_62
.LBB0_4:                                ; =>This Loop Header: Depth=1
                                        ;     Child Loop BB0_6 Depth 2
                                        ;       Child Loop BB0_16 Depth 3
                                        ;       Child Loop BB0_20 Depth 3
                                        ;     Child Loop BB0_28 Depth 2
                                        ;       Child Loop BB0_33 Depth 3
                                        ;       Child Loop BB0_37 Depth 3
	;; [unrolled: 1-line block ×4, first 2 shown]
	v_cmp_eq_u32_e32 vcc, 1, v22
	v_cmp_eq_u32_e64 s[0:1], 2, v22
	s_waitcnt vmcnt(3)
	v_cndmask_b32_e32 v27, v4, v5, vcc
	v_cmp_eq_u32_e64 s[2:3], 3, v22
	v_cndmask_b32_e64 v27, v27, v6, s[0:1]
	v_cmp_eq_u32_e64 s[4:5], 4, v22
	v_cndmask_b32_e64 v27, v27, v7, s[2:3]
	;; [unrolled: 2-line block ×3, first 2 shown]
	v_cmp_eq_u32_e64 s[8:9], 6, v22
	v_add_u32_e32 v26, 1, v22
	v_cndmask_b32_e64 v27, v27, v1, s[6:7]
	v_cmp_eq_u32_e64 s[10:11], 7, v22
	v_cmp_eq_u32_e64 s[14:15], 1, v26
	v_cndmask_b32_e64 v27, v27, v2, s[8:9]
	s_waitcnt vmcnt(1)
	v_cndmask_b32_e64 v20, v12, v13, s[14:15]
	v_cmp_eq_u32_e64 s[16:17], 2, v26
	v_cndmask_b32_e64 v28, v27, v3, s[10:11]
	v_cndmask_b32_e64 v27, v4, v5, s[14:15]
	v_cndmask_b32_e32 v18, v12, v13, vcc
	v_cndmask_b32_e64 v20, v20, v14, s[16:17]
	v_cmp_eq_u32_e64 s[18:19], 3, v26
	v_cndmask_b32_e64 v27, v27, v6, s[16:17]
	v_cndmask_b32_e64 v18, v18, v14, s[0:1]
	v_cndmask_b32_e64 v20, v20, v15, s[18:19]
	v_cmp_eq_u32_e64 s[20:21], 4, v26
	v_cndmask_b32_e64 v27, v27, v7, s[18:19]
	v_cndmask_b32_e64 v18, v18, v15, s[2:3]
	;; [unrolled: 4-line block ×3, first 2 shown]
	v_add_u32_e32 v19, -1, v23
	v_cndmask_b32_e64 v20, v20, v9, s[22:23]
	v_cmp_eq_u32_e64 s[24:25], 6, v26
	v_cndmask_b32_e64 v27, v27, v1, s[22:23]
	v_cndmask_b32_e64 v18, v18, v9, s[6:7]
	v_cmp_gt_u32_e64 s[12:13], 31, v19
	v_cndmask_b32_e64 v20, v20, v10, s[24:25]
	v_cmp_eq_u32_e64 s[26:27], 7, v26
	v_sub_u32_e32 v21, 32, v23
	v_cndmask_b32_e64 v27, v27, v2, s[24:25]
	v_cndmask_b32_e64 v18, v18, v10, s[8:9]
	;; [unrolled: 1-line block ×7, first 2 shown]
	v_lshrrev_b32_e32 v20, v21, v20
	v_lshrrev_b32_e32 v21, v21, v29
	v_lshl_or_b32 v21, v28, v19, v21
	v_lshl_or_b32 v30, v18, v19, v20
	v_xor_b32_e32 v18, v21, v30
	v_ffbh_u32_e32 v18, v18
	v_cndmask_b32_e64 v19, 0, 1, s[34:35]
	v_cmp_ne_u32_e64 s[0:1], 1, v19
	s_andn2_b64 vcc, exec, s[34:35]
	v_min_u32_e32 v27, 32, v18
	s_cbranch_vccnz .LBB0_26
; %bb.5:                                ;   in Loop: Header=BB0_4 Depth=1
	v_add_u32_e32 v18, -1, v22
	v_cmp_eq_u32_e64 s[2:3], 1, v18
	v_cndmask_b32_e64 v19, v4, v5, s[2:3]
	v_cmp_eq_u32_e64 s[2:3], 2, v18
	v_cndmask_b32_e64 v19, v19, v6, s[2:3]
	;; [unrolled: 2-line block ×5, first 2 shown]
	v_cmp_eq_u32_e64 s[2:3], 6, v18
	v_cmp_eq_u32_e32 vcc, 0, v22
	v_cndmask_b32_e64 v19, v19, v2, s[2:3]
	v_cmp_eq_u32_e64 s[2:3], 7, v18
	s_mov_b32 s14, 0
	s_mov_b32 s15, 1
	v_cndmask_b32_e64 v20, v19, v3, s[2:3]
	v_sub_u32_e32 v21, 2, v23
	s_xor_b64 s[2:3], vcc, -1
.LBB0_6:                                ;   Parent Loop BB0_4 Depth=1
                                        ; =>  This Loop Header: Depth=2
                                        ;       Child Loop BB0_16 Depth 3
                                        ;       Child Loop BB0_20 Depth 3
	s_lshl_b32 s8, s15, 1
	v_cmp_le_i32_e32 vcc, s8, v23
	s_or_b64 s[4:5], s[2:3], vcc
                                        ; implicit-def: $vgpr18
	s_and_saveexec_b64 s[6:7], s[4:5]
	s_xor_b64 s[4:5], exec, s[6:7]
	s_cbranch_execz .LBB0_12
; %bb.7:                                ;   in Loop: Header=BB0_6 Depth=2
	v_subrev_u32_e32 v19, s8, v23
	v_cmp_lt_i32_e32 vcc, -1, v19
                                        ; implicit-def: $vgpr18
	s_and_saveexec_b64 s[6:7], vcc
	s_xor_b64 s[6:7], exec, s[6:7]
; %bb.8:                                ;   in Loop: Header=BB0_6 Depth=2
	v_add_u32_e32 v18, -1, v19
	v_cmp_gt_u32_e32 vcc, 31, v18
	v_cndmask_b32_e32 v18, 0, v19, vcc
	v_sub_u32_e32 v19, 32, v19
	v_cndmask_b32_e32 v19, 0, v19, vcc
	v_lshrrev_b32_e32 v19, v19, v29
	v_lshl_or_b32 v18, v28, v18, v19
	v_xor_b32_e32 v18, v18, v30
; %bb.9:                                ;   in Loop: Header=BB0_6 Depth=2
	s_andn2_saveexec_b64 s[6:7], s[6:7]
; %bb.10:                               ;   in Loop: Header=BB0_6 Depth=2
	v_sub_u32_e32 v18, s8, v23
	v_add_u32_e32 v31, -1, v18
	v_cmp_gt_u32_e32 vcc, 31, v31
	v_sub_u32_e32 v19, 32, v18
	v_cndmask_b32_e32 v18, 0, v18, vcc
	v_cndmask_b32_e32 v19, 0, v19, vcc
	v_lshrrev_b32_e32 v18, v18, v28
	v_lshl_or_b32 v18, v20, v19, v18
	v_xor_b32_e32 v18, v18, v30
; %bb.11:                               ;   in Loop: Header=BB0_6 Depth=2
	s_or_b64 exec, exec, s[6:7]
.LBB0_12:                               ;   in Loop: Header=BB0_6 Depth=2
	s_andn2_saveexec_b64 s[4:5], s[4:5]
	s_cbranch_execz .LBB0_24
; %bb.13:                               ;   in Loop: Header=BB0_6 Depth=2
	v_sub_u32_e32 v31, s8, v23
	v_cmp_lt_i32_e32 vcc, 0, v31
	v_mov_b32_e32 v18, 0
	s_and_saveexec_b64 s[6:7], vcc
	s_cbranch_execz .LBB0_23
; %bb.14:                               ;   in Loop: Header=BB0_6 Depth=2
	s_lshl_b32 s8, s14, 1
	v_sub_u32_e32 v32, s8, v23
	v_cmp_gt_u32_e32 vcc, -2, v32
	s_mov_b64 s[10:11], -1
	s_mov_b32 s16, 0
	v_mov_b32_e32 v18, 0
	v_mov_b32_e32 v33, 0
	s_and_saveexec_b64 s[8:9], vcc
	s_cbranch_execz .LBB0_18
; %bb.15:                               ;   in Loop: Header=BB0_6 Depth=2
	v_and_b32_e32 v33, -2, v21
	s_mov_b32 s17, 1
	s_mov_b64 s[10:11], 0
	s_mov_b32 s12, 0
	s_mov_b32 s13, s16
.LBB0_16:                               ;   Parent Loop BB0_4 Depth=1
                                        ;     Parent Loop BB0_6 Depth=2
                                        ; =>    This Inner Loop Header: Depth=3
	s_lshr_b32 s18, 0x80000000, s17
	s_lshr_b32 s19, 0x80000000, s16
	s_cmp_lt_u32 s16, 31
	s_cselect_b32 s19, s19, 1
	s_cmp_lt_u32 s17, 31
	v_add_u32_e32 v33, -2, v33
	s_cselect_b32 s18, s18, 1
	v_cmp_eq_u32_e32 vcc, 0, v33
	s_or_b32 s12, s19, s12
	s_add_i32 s16, s16, 2
	s_add_i32 s17, s17, 2
	s_or_b32 s13, s18, s13
	s_or_b64 s[10:11], vcc, s[10:11]
	v_pk_mov_b32 v[18:19], s[12:13], s[12:13] op_sel:[0,1]
	s_andn2_b64 exec, exec, s[10:11]
	s_cbranch_execnz .LBB0_16
; %bb.17:                               ;   in Loop: Header=BB0_6 Depth=2
	s_or_b64 exec, exec, s[10:11]
	v_add_u32_e32 v32, 2, v32
	v_and_b32_e32 v33, -2, v32
	v_cmp_ne_u32_e32 vcc, v32, v33
	v_or_b32_e32 v18, v18, v19
	s_orn2_b64 s[10:11], vcc, exec
.LBB0_18:                               ;   in Loop: Header=BB0_6 Depth=2
	s_or_b64 exec, exec, s[8:9]
	s_and_saveexec_b64 s[8:9], s[10:11]
	s_cbranch_execz .LBB0_22
; %bb.19:                               ;   in Loop: Header=BB0_6 Depth=2
	s_mov_b64 s[10:11], 0
.LBB0_20:                               ;   Parent Loop BB0_4 Depth=1
                                        ;     Parent Loop BB0_6 Depth=2
                                        ; =>    This Inner Loop Header: Depth=3
	v_lshrrev_b32_e64 v19, v33, s28
	v_cmp_gt_u32_e32 vcc, 31, v33
	v_add_u32_e32 v33, 1, v33
	v_cndmask_b32_e32 v19, 1, v19, vcc
	v_cmp_ge_i32_e32 vcc, v33, v31
	s_or_b64 s[10:11], vcc, s[10:11]
	v_or_b32_e32 v18, v19, v18
	s_andn2_b64 exec, exec, s[10:11]
	s_cbranch_execnz .LBB0_20
; %bb.21:                               ;   in Loop: Header=BB0_6 Depth=2
	s_or_b64 exec, exec, s[10:11]
.LBB0_22:                               ;   in Loop: Header=BB0_6 Depth=2
	s_or_b64 exec, exec, s[8:9]
.LBB0_23:                               ;   in Loop: Header=BB0_6 Depth=2
	s_or_b64 exec, exec, s[6:7]
	v_add_u32_e32 v19, -1, v31
	v_cmp_gt_u32_e32 vcc, 31, v19
	v_cndmask_b32_e32 v19, 0, v31, vcc
	v_lshrrev_b32_e32 v19, v19, v28
	v_xor_b32_e32 v19, v19, v30
	v_or_b32_e32 v18, v18, v19
.LBB0_24:                               ;   in Loop: Header=BB0_6 Depth=2
	s_or_b64 exec, exec, s[4:5]
	v_ffbh_u32_e32 v18, v18
	v_min_u32_e32 v18, 32, v18
	s_add_i32 s4, s15, 1
	s_add_i32 s14, s14, 1
	v_max_i32_e32 v27, v18, v27
	s_cmp_eq_u32 s15, s29
	v_add_u32_e32 v21, 2, v21
	s_cbranch_scc1 .LBB0_26
; %bb.25:                               ;   in Loop: Header=BB0_6 Depth=2
	s_mov_b32 s15, s4
	s_branch .LBB0_6
.LBB0_26:                               ;   in Loop: Header=BB0_4 Depth=1
	s_and_b64 vcc, exec, s[0:1]
	s_cbranch_vccnz .LBB0_59
; %bb.27:                               ;   in Loop: Header=BB0_4 Depth=1
	v_add_u32_e32 v19, 2, v22
	v_cmp_eq_u32_e32 vcc, 1, v19
	v_cndmask_b32_e32 v20, v4, v5, vcc
	v_cmp_eq_u32_e32 vcc, 2, v19
	v_cndmask_b32_e32 v20, v20, v6, vcc
	v_cmp_eq_u32_e32 vcc, 3, v19
	v_cndmask_b32_e32 v20, v20, v7, vcc
	v_cmp_eq_u32_e32 vcc, 4, v19
	v_cndmask_b32_e32 v20, v20, v0, vcc
	v_cmp_eq_u32_e32 vcc, 5, v19
	v_cndmask_b32_e32 v20, v20, v1, vcc
	v_cmp_eq_u32_e32 vcc, 6, v19
	v_cndmask_b32_e32 v20, v20, v2, vcc
	v_cmp_eq_u32_e32 vcc, 7, v19
	v_add_u32_e32 v33, 0xffffff5a, v25
	v_cmp_lt_i32_e64 s[0:1], 4, v22
	v_cmp_gt_i32_e64 s[2:3], s33, v25
	v_add_u32_e32 v31, 32, v25
	v_add_u32_e32 v18, 0xffffff58, v25
	s_mov_b32 s12, 2
	s_mov_b32 s13, 1
	v_cndmask_b32_e32 v32, v20, v3, vcc
	v_add_u32_e32 v19, 0xffffff59, v25
	v_sub_u32_e32 v34, 0xa8, v25
	s_mov_b32 s14, 0
	v_mov_b32_e32 v35, v33
.LBB0_28:                               ;   Parent Loop BB0_4 Depth=1
                                        ; =>  This Loop Header: Depth=2
                                        ;       Child Loop BB0_33 Depth 3
                                        ;       Child Loop BB0_37 Depth 3
	;; [unrolled: 1-line block ×4, first 2 shown]
	s_lshl_b32 s15, s13, 1
	v_add_u32_e32 v36, s15, v23
                                        ; implicit-def: $vgpr20
	s_and_saveexec_b64 s[4:5], s[0:1]
	s_xor_b64 s[4:5], exec, s[4:5]
	s_cbranch_execz .LBB0_51
; %bb.29:                               ;   in Loop: Header=BB0_28 Depth=2
                                        ; implicit-def: $vgpr20
	s_and_saveexec_b64 s[6:7], s[2:3]
	s_xor_b64 s[6:7], exec, s[6:7]
	s_cbranch_execz .LBB0_40
; %bb.30:                               ;   in Loop: Header=BB0_28 Depth=2
	s_sub_i32 s8, 0xc8, s15
	v_cmp_le_i32_e32 vcc, s8, v31
	v_mov_b32_e32 v20, 0
	s_and_saveexec_b64 s[8:9], vcc
	s_cbranch_execz .LBB0_39
; %bb.31:                               ;   in Loop: Header=BB0_28 Depth=2
	s_cmp_eq_u32 s14, 0x7fffffff
	s_mov_b64 s[10:11], -1
                                        ; implicit-def: $sgpr16
	s_cbranch_scc1 .LBB0_35
; %bb.32:                               ;   in Loop: Header=BB0_28 Depth=2
	s_mov_b32 s10, 1
	s_mov_b32 s11, 0
	;; [unrolled: 1-line block ×5, first 2 shown]
.LBB0_33:                               ;   Parent Loop BB0_4 Depth=1
                                        ;     Parent Loop BB0_28 Depth=2
                                        ; =>    This Inner Loop Header: Depth=3
	s_add_i32 s19, s10, -1
	s_add_i32 s20, s11, -1
	s_lshl_b32 s21, 1, s10
	s_lshl_b32 s22, 1, s11
	s_cmp_lt_u32 s20, 31
	s_cselect_b32 s20, s22, 1
	s_cmp_lt_u32 s19, 31
	s_cselect_b32 s19, s21, 1
	s_or_b32 s17, s20, s17
	s_add_i32 s11, s11, 2
	s_add_i32 s10, s10, 2
	s_add_i32 s16, s16, -2
	s_or_b32 s18, s19, s18
	s_cmp_lg_u32 s16, 0
	s_cbranch_scc1 .LBB0_33
; %bb.34:                               ;   in Loop: Header=BB0_28 Depth=2
	s_or_b32 s16, s17, s18
	s_mov_b64 s[10:11], 0
.LBB0_35:                               ;   in Loop: Header=BB0_28 Depth=2
	s_and_b64 vcc, exec, s[10:11]
	s_cbranch_vccz .LBB0_38
; %bb.36:                               ;   in Loop: Header=BB0_28 Depth=2
	s_mov_b32 s10, 0
	s_mov_b32 s16, 0
.LBB0_37:                               ;   Parent Loop BB0_4 Depth=1
                                        ;     Parent Loop BB0_28 Depth=2
                                        ; =>    This Inner Loop Header: Depth=3
	s_add_i32 s11, s10, -1
	s_lshl_b32 s17, 1, s10
	s_cmp_lt_u32 s11, 31
	s_cselect_b32 s11, s17, 1
	s_add_i32 s10, s10, 1
	s_or_b32 s16, s11, s16
	s_cmp_lt_u32 s10, s15
	s_cbranch_scc1 .LBB0_37
.LBB0_38:                               ;   in Loop: Header=BB0_28 Depth=2
	v_mov_b32_e32 v20, s16
.LBB0_39:                               ;   in Loop: Header=BB0_28 Depth=2
	s_or_b64 exec, exec, s[8:9]
.LBB0_40:                               ;   in Loop: Header=BB0_28 Depth=2
	s_andn2_saveexec_b64 s[6:7], s[6:7]
	s_cbranch_execz .LBB0_50
; %bb.41:                               ;   in Loop: Header=BB0_28 Depth=2
	v_lshl_add_u32 v20, s14, 1, v33
	v_max_i32_e32 v37, v20, v19
	v_sub_u32_e32 v20, v37, v25
	v_add_u32_e32 v38, 0xa8, v20
	v_cmp_lt_u32_e32 vcc, 1, v38
	s_mov_b64 s[10:11], -1
	v_mov_b32_e32 v20, 0
	v_mov_b32_e32 v21, v18
	s_and_saveexec_b64 s[8:9], vcc
	s_cbranch_execz .LBB0_45
; %bb.42:                               ;   in Loop: Header=BB0_28 Depth=2
	v_max_i32_e32 v20, v35, v19
	v_add_u32_e32 v21, v34, v20
	v_and_b32_e32 v20, 1, v20
	v_sub_u32_e32 v40, v21, v20
	s_mov_b64 s[10:11], 0
	v_mov_b32_e32 v39, 0
	v_pk_mov_b32 v[20:21], v[18:19], v[18:19] op_sel:[0,1]
	v_mov_b32_e32 v41, 0
.LBB0_43:                               ;   Parent Loop BB0_4 Depth=1
                                        ;     Parent Loop BB0_28 Depth=2
                                        ; =>    This Inner Loop Header: Depth=3
	v_add_u32_e32 v42, -1, v20
	v_add_u32_e32 v43, -1, v21
	v_lshlrev_b32_e64 v45, v20, 1
	v_cmp_gt_u32_e32 vcc, 31, v42
	v_lshlrev_b32_e64 v44, v21, 1
	v_add_u32_e32 v40, -2, v40
	v_cndmask_b32_e32 v42, 1, v45, vcc
	v_cmp_gt_u32_e32 vcc, 31, v43
	v_cndmask_b32_e32 v43, 1, v44, vcc
	v_cmp_eq_u32_e32 vcc, 0, v40
	v_add_u32_e32 v21, 2, v21
	v_add_u32_e32 v20, 2, v20
	v_or_b32_e32 v41, v43, v41
	s_or_b64 s[10:11], vcc, s[10:11]
	v_or_b32_e32 v39, v42, v39
	s_andn2_b64 exec, exec, s[10:11]
	s_cbranch_execnz .LBB0_43
; %bb.44:                               ;   in Loop: Header=BB0_28 Depth=2
	s_or_b64 exec, exec, s[10:11]
	v_and_b32_e32 v37, 1, v37
	v_sub_u32_e32 v20, v38, v37
	v_cmp_eq_u32_e32 vcc, 1, v37
	v_add_u32_e32 v21, v18, v20
	v_or_b32_e32 v20, v39, v41
	s_orn2_b64 s[10:11], vcc, exec
.LBB0_45:                               ;   in Loop: Header=BB0_28 Depth=2
	s_or_b64 exec, exec, s[8:9]
	s_and_saveexec_b64 s[8:9], s[10:11]
	s_cbranch_execz .LBB0_49
; %bb.46:                               ;   in Loop: Header=BB0_28 Depth=2
	v_add_u32_e32 v37, s15, v18
	s_mov_b64 s[10:11], 0
.LBB0_47:                               ;   Parent Loop BB0_4 Depth=1
                                        ;     Parent Loop BB0_28 Depth=2
                                        ; =>    This Inner Loop Header: Depth=3
	v_add_u32_e32 v38, -1, v21
	v_lshlrev_b32_e64 v39, v21, 1
	v_add_u32_e32 v21, 1, v21
	v_cmp_gt_u32_e32 vcc, 31, v38
	v_cndmask_b32_e32 v38, 1, v39, vcc
	v_cmp_ge_i32_e32 vcc, v21, v37
	s_or_b64 s[10:11], vcc, s[10:11]
	v_or_b32_e32 v20, v38, v20
	s_andn2_b64 exec, exec, s[10:11]
	s_cbranch_execnz .LBB0_47
; %bb.48:                               ;   in Loop: Header=BB0_28 Depth=2
	s_or_b64 exec, exec, s[10:11]
.LBB0_49:                               ;   in Loop: Header=BB0_28 Depth=2
	s_or_b64 exec, exec, s[8:9]
.LBB0_50:                               ;   in Loop: Header=BB0_28 Depth=2
	s_or_b64 exec, exec, s[6:7]
	v_add_u32_e32 v21, -1, v36
	v_cmp_gt_u32_e32 vcc, 31, v21
	v_cndmask_b32_e32 v21, 0, v36, vcc
	v_sub_u32_e32 v36, 32, v36
	v_cndmask_b32_e32 v36, 0, v36, vcc
	v_lshrrev_b32_e32 v36, v36, v29
	v_lshl_or_b32 v21, v28, v21, v36
	v_xor_b32_e32 v21, v21, v30
	v_or_b32_e32 v20, v20, v21
                                        ; implicit-def: $vgpr36
.LBB0_51:                               ;   in Loop: Header=BB0_28 Depth=2
	s_andn2_saveexec_b64 s[4:5], s[4:5]
	s_cbranch_execz .LBB0_57
; %bb.52:                               ;   in Loop: Header=BB0_28 Depth=2
	v_cmp_lt_i32_e32 vcc, 31, v36
                                        ; implicit-def: $vgpr20
	s_and_saveexec_b64 s[6:7], vcc
	s_xor_b64 s[6:7], exec, s[6:7]
; %bb.53:                               ;   in Loop: Header=BB0_28 Depth=2
	v_and_b32_e32 v20, 31, v36
	v_add_u32_e32 v21, -1, v20
	v_cmp_gt_u32_e32 vcc, 31, v21
	v_cndmask_b32_e32 v21, 0, v20, vcc
	v_sub_u32_e32 v36, 32, v20
	v_cmp_ne_u32_e32 vcc, 0, v20
	v_cndmask_b32_e32 v20, 0, v36, vcc
	v_lshrrev_b32_e32 v20, v20, v32
	v_lshl_or_b32 v20, v29, v21, v20
	v_xor_b32_e32 v20, v20, v30
                                        ; implicit-def: $vgpr36
; %bb.54:                               ;   in Loop: Header=BB0_28 Depth=2
	s_andn2_saveexec_b64 s[6:7], s[6:7]
; %bb.55:                               ;   in Loop: Header=BB0_28 Depth=2
	v_add_u32_e32 v20, -1, v36
	v_cmp_gt_u32_e32 vcc, 31, v20
	v_sub_u32_e32 v21, 32, v36
	v_cndmask_b32_e32 v21, 0, v21, vcc
	v_cndmask_b32_e32 v20, 0, v36, vcc
	v_lshrrev_b32_e32 v21, v21, v29
	v_lshl_or_b32 v20, v28, v20, v21
	v_xor_b32_e32 v20, v20, v30
; %bb.56:                               ;   in Loop: Header=BB0_28 Depth=2
	s_or_b64 exec, exec, s[6:7]
.LBB0_57:                               ;   in Loop: Header=BB0_28 Depth=2
	s_or_b64 exec, exec, s[4:5]
	v_ffbh_u32_e32 v20, v20
	v_min_u32_e32 v20, 32, v20
	s_add_i32 s4, s13, 1
	s_add_i32 s14, s14, 1
	;; [unrolled: 1-line block ×3, first 2 shown]
	v_max_i32_e32 v27, v20, v27
	s_cmp_eq_u32 s13, s29
	v_add_u32_e32 v35, 2, v35
	s_cbranch_scc1 .LBB0_59
; %bb.58:                               ;   in Loop: Header=BB0_28 Depth=2
	s_mov_b32 s13, s4
	s_branch .LBB0_28
.LBB0_59:                               ;   in Loop: Header=BB0_4 Depth=1
	v_cmp_ne_u32_e64 s[0:1], 6, v22
	v_cmp_gt_u32_e64 s[2:3], 8, v27
	v_cmp_eq_u32_e32 vcc, 6, v22
	s_or_b64 s[2:3], s[0:1], s[2:3]
	s_mov_b64 s[0:1], -1
	s_or_b64 s[38:39], s[38:39], exec
	s_and_saveexec_b64 s[4:5], s[2:3]
	s_cbranch_execz .LBB0_3
; %bb.60:                               ;   in Loop: Header=BB0_4 Depth=1
	v_cmp_gt_u32_e64 s[0:1], 32, v27
	v_cmp_gt_i32_e64 s[2:3], 5, v22
	s_and_b64 s[2:3], s[2:3], s[0:1]
	v_cmp_gt_u32_e64 s[0:1], 8, v27
	s_and_b64 s[0:1], vcc, s[0:1]
	s_or_b64 s[0:1], s[2:3], s[0:1]
	v_cndmask_b32_e64 v18, 0, 1, s[0:1]
	v_add_u32_e32 v24, v24, v18
	v_cmp_ge_i32_e32 vcc, s29, v24
	s_mov_b64 s[0:1], -1
	s_mov_b64 s[2:3], 0
	s_and_saveexec_b64 s[6:7], vcc
	s_cbranch_execz .LBB0_2
; %bb.61:                               ;   in Loop: Header=BB0_4 Depth=1
	v_and_b32_e32 v18, 0x7ffffffe, v27
	v_add_u32_e32 v19, v18, v23
	v_add_u32_e32 v20, 2, v19
	v_cmp_lt_i32_e32 vcc, 29, v19
	v_cndmask_b32_e32 v22, v22, v26, vcc
	v_and_b32_e32 v19, 31, v20
	v_add_u32_e32 v20, 2, v18
	v_cmp_eq_u32_e32 vcc, 32, v18
	v_cndmask_b32_e64 v18, v20, 32, vcc
	v_add_u32_e32 v25, v18, v25
	v_cndmask_b32_e32 v23, v19, v23, vcc
	v_cmp_lt_i32_e32 vcc, 6, v22
	v_cmp_lt_i32_e64 s[0:1], s40, v25
	s_or_b64 s[0:1], vcc, s[0:1]
	s_mov_b64 s[2:3], exec
	s_orn2_b64 s[0:1], s[0:1], exec
	s_branch .LBB0_2
.LBB0_62:
	s_or_b64 exec, exec, s[30:31]
	s_xor_b64 s[0:1], s[36:37], -1
	s_and_saveexec_b64 s[2:3], s[0:1]
	s_xor_b64 s[2:3], exec, s[2:3]
	s_cbranch_execz .LBB0_64
; %bb.63:
	v_mov_b32_e32 v0, 0
	global_store_dword v[16:17], v0, off
.LBB0_64:
	s_endpgm
	.section	.rodata,"a",@progbits
	.p2align	6, 0x0
	.amdhsa_kernel _Z12sneaky_snakePKjS0_Piii
		.amdhsa_group_segment_fixed_size 0
		.amdhsa_private_segment_fixed_size 0
		.amdhsa_kernarg_size 288
		.amdhsa_user_sgpr_count 6
		.amdhsa_user_sgpr_private_segment_buffer 1
		.amdhsa_user_sgpr_dispatch_ptr 0
		.amdhsa_user_sgpr_queue_ptr 0
		.amdhsa_user_sgpr_kernarg_segment_ptr 1
		.amdhsa_user_sgpr_dispatch_id 0
		.amdhsa_user_sgpr_flat_scratch_init 0
		.amdhsa_user_sgpr_kernarg_preload_length 0
		.amdhsa_user_sgpr_kernarg_preload_offset 0
		.amdhsa_user_sgpr_private_segment_size 0
		.amdhsa_uses_dynamic_stack 0
		.amdhsa_system_sgpr_private_segment_wavefront_offset 0
		.amdhsa_system_sgpr_workgroup_id_x 1
		.amdhsa_system_sgpr_workgroup_id_y 0
		.amdhsa_system_sgpr_workgroup_id_z 0
		.amdhsa_system_sgpr_workgroup_info 0
		.amdhsa_system_vgpr_workitem_id 0
		.amdhsa_next_free_vgpr 46
		.amdhsa_next_free_sgpr 41
		.amdhsa_accum_offset 48
		.amdhsa_reserve_vcc 1
		.amdhsa_reserve_flat_scratch 0
		.amdhsa_float_round_mode_32 0
		.amdhsa_float_round_mode_16_64 0
		.amdhsa_float_denorm_mode_32 3
		.amdhsa_float_denorm_mode_16_64 3
		.amdhsa_dx10_clamp 1
		.amdhsa_ieee_mode 1
		.amdhsa_fp16_overflow 0
		.amdhsa_tg_split 0
		.amdhsa_exception_fp_ieee_invalid_op 0
		.amdhsa_exception_fp_denorm_src 0
		.amdhsa_exception_fp_ieee_div_zero 0
		.amdhsa_exception_fp_ieee_overflow 0
		.amdhsa_exception_fp_ieee_underflow 0
		.amdhsa_exception_fp_ieee_inexact 0
		.amdhsa_exception_int_div_zero 0
	.end_amdhsa_kernel
	.text
.Lfunc_end0:
	.size	_Z12sneaky_snakePKjS0_Piii, .Lfunc_end0-_Z12sneaky_snakePKjS0_Piii
                                        ; -- End function
	.section	.AMDGPU.csdata,"",@progbits
; Kernel info:
; codeLenInByte = 2324
; NumSgprs: 45
; NumVgprs: 46
; NumAgprs: 0
; TotalNumVgprs: 46
; ScratchSize: 0
; MemoryBound: 1
; FloatMode: 240
; IeeeMode: 1
; LDSByteSize: 0 bytes/workgroup (compile time only)
; SGPRBlocks: 5
; VGPRBlocks: 5
; NumSGPRsForWavesPerEU: 45
; NumVGPRsForWavesPerEU: 46
; AccumOffset: 48
; Occupancy: 8
; WaveLimiterHint : 0
; COMPUTE_PGM_RSRC2:SCRATCH_EN: 0
; COMPUTE_PGM_RSRC2:USER_SGPR: 6
; COMPUTE_PGM_RSRC2:TRAP_HANDLER: 0
; COMPUTE_PGM_RSRC2:TGID_X_EN: 1
; COMPUTE_PGM_RSRC2:TGID_Y_EN: 0
; COMPUTE_PGM_RSRC2:TGID_Z_EN: 0
; COMPUTE_PGM_RSRC2:TIDIG_COMP_CNT: 0
; COMPUTE_PGM_RSRC3_GFX90A:ACCUM_OFFSET: 11
; COMPUTE_PGM_RSRC3_GFX90A:TG_SPLIT: 0
	.text
	.p2alignl 6, 3212836864
	.fill 256, 4, 3212836864
	.type	__hip_cuid_685a5c64a18fc849,@object ; @__hip_cuid_685a5c64a18fc849
	.section	.bss,"aw",@nobits
	.globl	__hip_cuid_685a5c64a18fc849
__hip_cuid_685a5c64a18fc849:
	.byte	0                               ; 0x0
	.size	__hip_cuid_685a5c64a18fc849, 1

	.ident	"AMD clang version 19.0.0git (https://github.com/RadeonOpenCompute/llvm-project roc-6.4.0 25133 c7fe45cf4b819c5991fe208aaa96edf142730f1d)"
	.section	".note.GNU-stack","",@progbits
	.addrsig
	.addrsig_sym __hip_cuid_685a5c64a18fc849
	.amdgpu_metadata
---
amdhsa.kernels:
  - .agpr_count:     0
    .args:
      - .actual_access:  read_only
        .address_space:  global
        .offset:         0
        .size:           8
        .value_kind:     global_buffer
      - .actual_access:  read_only
        .address_space:  global
        .offset:         8
        .size:           8
        .value_kind:     global_buffer
      - .actual_access:  write_only
        .address_space:  global
        .offset:         16
        .size:           8
        .value_kind:     global_buffer
      - .offset:         24
        .size:           4
        .value_kind:     by_value
      - .offset:         28
        .size:           4
        .value_kind:     by_value
      - .offset:         32
        .size:           4
        .value_kind:     hidden_block_count_x
      - .offset:         36
        .size:           4
        .value_kind:     hidden_block_count_y
      - .offset:         40
        .size:           4
        .value_kind:     hidden_block_count_z
      - .offset:         44
        .size:           2
        .value_kind:     hidden_group_size_x
      - .offset:         46
        .size:           2
        .value_kind:     hidden_group_size_y
      - .offset:         48
        .size:           2
        .value_kind:     hidden_group_size_z
      - .offset:         50
        .size:           2
        .value_kind:     hidden_remainder_x
      - .offset:         52
        .size:           2
        .value_kind:     hidden_remainder_y
      - .offset:         54
        .size:           2
        .value_kind:     hidden_remainder_z
      - .offset:         72
        .size:           8
        .value_kind:     hidden_global_offset_x
      - .offset:         80
        .size:           8
        .value_kind:     hidden_global_offset_y
      - .offset:         88
        .size:           8
        .value_kind:     hidden_global_offset_z
      - .offset:         96
        .size:           2
        .value_kind:     hidden_grid_dims
    .group_segment_fixed_size: 0
    .kernarg_segment_align: 8
    .kernarg_segment_size: 288
    .language:       OpenCL C
    .language_version:
      - 2
      - 0
    .max_flat_workgroup_size: 1024
    .name:           _Z12sneaky_snakePKjS0_Piii
    .private_segment_fixed_size: 0
    .sgpr_count:     45
    .sgpr_spill_count: 0
    .symbol:         _Z12sneaky_snakePKjS0_Piii.kd
    .uniform_work_group_size: 1
    .uses_dynamic_stack: false
    .vgpr_count:     46
    .vgpr_spill_count: 0
    .wavefront_size: 64
amdhsa.target:   amdgcn-amd-amdhsa--gfx90a
amdhsa.version:
  - 1
  - 2
...

	.end_amdgpu_metadata
